;; amdgpu-corpus repo=ROCm/rocFFT kind=compiled arch=gfx1030 opt=O3
	.text
	.amdgcn_target "amdgcn-amd-amdhsa--gfx1030"
	.amdhsa_code_object_version 6
	.protected	fft_rtc_fwd_len272_factors_16_17_wgs_119_tpt_17_halfLds_half_op_CI_CI_unitstride_sbrr_dirReg ; -- Begin function fft_rtc_fwd_len272_factors_16_17_wgs_119_tpt_17_halfLds_half_op_CI_CI_unitstride_sbrr_dirReg
	.globl	fft_rtc_fwd_len272_factors_16_17_wgs_119_tpt_17_halfLds_half_op_CI_CI_unitstride_sbrr_dirReg
	.p2align	8
	.type	fft_rtc_fwd_len272_factors_16_17_wgs_119_tpt_17_halfLds_half_op_CI_CI_unitstride_sbrr_dirReg,@function
fft_rtc_fwd_len272_factors_16_17_wgs_119_tpt_17_halfLds_half_op_CI_CI_unitstride_sbrr_dirReg: ; @fft_rtc_fwd_len272_factors_16_17_wgs_119_tpt_17_halfLds_half_op_CI_CI_unitstride_sbrr_dirReg
; %bb.0:
	s_load_dwordx4 s[12:15], s[4:5], 0x0
	v_mul_u32_u24_e32 v1, 0xf10, v0
	s_clause 0x1
	s_load_dwordx4 s[8:11], s[4:5], 0x58
	s_load_dwordx4 s[16:19], s[4:5], 0x18
	v_mov_b32_e32 v3, 0
	v_mov_b32_e32 v8, 0
	;; [unrolled: 1-line block ×3, first 2 shown]
	v_lshrrev_b32_e32 v1, 16, v1
	v_mad_u64_u32 v[6:7], null, s6, 7, v[1:2]
	v_mov_b32_e32 v7, v3
	v_mov_b32_e32 v1, v8
	;; [unrolled: 1-line block ×4, first 2 shown]
	s_waitcnt lgkmcnt(0)
	v_cmp_lt_u64_e64 s0, s[14:15], 2
	v_mov_b32_e32 v5, v7
	s_and_b32 vcc_lo, exec_lo, s0
	s_cbranch_vccnz .LBB0_8
; %bb.1:
	s_load_dwordx2 s[0:1], s[4:5], 0x10
	v_mov_b32_e32 v8, 0
	v_mov_b32_e32 v9, 0
	s_add_u32 s2, s18, 8
	v_mov_b32_e32 v11, v7
	s_addc_u32 s3, s19, 0
	v_mov_b32_e32 v1, v8
	v_mov_b32_e32 v10, v6
	s_add_u32 s6, s16, 8
	v_mov_b32_e32 v2, v9
	s_addc_u32 s7, s17, 0
	s_mov_b64 s[22:23], 1
	s_waitcnt lgkmcnt(0)
	s_add_u32 s20, s0, 8
	s_addc_u32 s21, s1, 0
.LBB0_2:                                ; =>This Inner Loop Header: Depth=1
	s_load_dwordx2 s[24:25], s[20:21], 0x0
	s_waitcnt lgkmcnt(0)
	v_or_b32_e32 v4, s25, v11
	v_cmp_ne_u64_e32 vcc_lo, 0, v[3:4]
                                        ; implicit-def: $vgpr4_vgpr5
	s_and_saveexec_b32 s0, vcc_lo
	s_xor_b32 s1, exec_lo, s0
	s_cbranch_execz .LBB0_4
; %bb.3:                                ;   in Loop: Header=BB0_2 Depth=1
	v_cvt_f32_u32_e32 v4, s24
	v_cvt_f32_u32_e32 v5, s25
	s_sub_u32 s0, 0, s24
	s_subb_u32 s26, 0, s25
	v_fmac_f32_e32 v4, 0x4f800000, v5
	v_rcp_f32_e32 v4, v4
	v_mul_f32_e32 v4, 0x5f7ffffc, v4
	v_mul_f32_e32 v5, 0x2f800000, v4
	v_trunc_f32_e32 v5, v5
	v_fmac_f32_e32 v4, 0xcf800000, v5
	v_cvt_u32_f32_e32 v5, v5
	v_cvt_u32_f32_e32 v4, v4
	v_mul_lo_u32 v7, s0, v5
	v_mul_hi_u32 v12, s0, v4
	v_mul_lo_u32 v13, s26, v4
	v_add_nc_u32_e32 v7, v12, v7
	v_mul_lo_u32 v12, s0, v4
	v_add_nc_u32_e32 v7, v7, v13
	v_mul_hi_u32 v13, v4, v12
	v_mul_lo_u32 v14, v4, v7
	v_mul_hi_u32 v15, v4, v7
	v_mul_hi_u32 v16, v5, v12
	v_mul_lo_u32 v12, v5, v12
	v_mul_hi_u32 v17, v5, v7
	v_mul_lo_u32 v7, v5, v7
	v_add_co_u32 v13, vcc_lo, v13, v14
	v_add_co_ci_u32_e32 v14, vcc_lo, 0, v15, vcc_lo
	v_add_co_u32 v12, vcc_lo, v13, v12
	v_add_co_ci_u32_e32 v12, vcc_lo, v14, v16, vcc_lo
	v_add_co_ci_u32_e32 v13, vcc_lo, 0, v17, vcc_lo
	v_add_co_u32 v7, vcc_lo, v12, v7
	v_add_co_ci_u32_e32 v12, vcc_lo, 0, v13, vcc_lo
	v_add_co_u32 v4, vcc_lo, v4, v7
	v_add_co_ci_u32_e32 v5, vcc_lo, v5, v12, vcc_lo
	v_mul_hi_u32 v7, s0, v4
	v_mul_lo_u32 v13, s26, v4
	v_mul_lo_u32 v12, s0, v5
	v_add_nc_u32_e32 v7, v7, v12
	v_mul_lo_u32 v12, s0, v4
	v_add_nc_u32_e32 v7, v7, v13
	v_mul_hi_u32 v13, v4, v12
	v_mul_lo_u32 v14, v4, v7
	v_mul_hi_u32 v15, v4, v7
	v_mul_hi_u32 v16, v5, v12
	v_mul_lo_u32 v12, v5, v12
	v_mul_hi_u32 v17, v5, v7
	v_mul_lo_u32 v7, v5, v7
	v_add_co_u32 v13, vcc_lo, v13, v14
	v_add_co_ci_u32_e32 v14, vcc_lo, 0, v15, vcc_lo
	v_add_co_u32 v12, vcc_lo, v13, v12
	v_add_co_ci_u32_e32 v12, vcc_lo, v14, v16, vcc_lo
	v_add_co_ci_u32_e32 v13, vcc_lo, 0, v17, vcc_lo
	v_add_co_u32 v7, vcc_lo, v12, v7
	v_add_co_ci_u32_e32 v12, vcc_lo, 0, v13, vcc_lo
	v_add_co_u32 v7, vcc_lo, v4, v7
	v_add_co_ci_u32_e32 v14, vcc_lo, v5, v12, vcc_lo
	v_mul_hi_u32 v16, v10, v7
	v_mad_u64_u32 v[12:13], null, v11, v7, 0
	v_mad_u64_u32 v[4:5], null, v10, v14, 0
	;; [unrolled: 1-line block ×3, first 2 shown]
	v_add_co_u32 v4, vcc_lo, v16, v4
	v_add_co_ci_u32_e32 v5, vcc_lo, 0, v5, vcc_lo
	v_add_co_u32 v4, vcc_lo, v4, v12
	v_add_co_ci_u32_e32 v4, vcc_lo, v5, v13, vcc_lo
	v_add_co_ci_u32_e32 v5, vcc_lo, 0, v15, vcc_lo
	v_add_co_u32 v7, vcc_lo, v4, v14
	v_add_co_ci_u32_e32 v12, vcc_lo, 0, v5, vcc_lo
	v_mul_lo_u32 v13, s25, v7
	v_mad_u64_u32 v[4:5], null, s24, v7, 0
	v_mul_lo_u32 v14, s24, v12
	v_sub_co_u32 v4, vcc_lo, v10, v4
	v_add3_u32 v5, v5, v14, v13
	v_sub_nc_u32_e32 v13, v11, v5
	v_subrev_co_ci_u32_e64 v13, s0, s25, v13, vcc_lo
	v_add_co_u32 v14, s0, v7, 2
	v_add_co_ci_u32_e64 v15, s0, 0, v12, s0
	v_sub_co_u32 v16, s0, v4, s24
	v_sub_co_ci_u32_e32 v5, vcc_lo, v11, v5, vcc_lo
	v_subrev_co_ci_u32_e64 v13, s0, 0, v13, s0
	v_cmp_le_u32_e32 vcc_lo, s24, v16
	v_cmp_eq_u32_e64 s0, s25, v5
	v_cndmask_b32_e64 v16, 0, -1, vcc_lo
	v_cmp_le_u32_e32 vcc_lo, s25, v13
	v_cndmask_b32_e64 v17, 0, -1, vcc_lo
	v_cmp_le_u32_e32 vcc_lo, s24, v4
	;; [unrolled: 2-line block ×3, first 2 shown]
	v_cndmask_b32_e64 v18, 0, -1, vcc_lo
	v_cmp_eq_u32_e32 vcc_lo, s25, v13
	v_cndmask_b32_e64 v4, v18, v4, s0
	v_cndmask_b32_e32 v13, v17, v16, vcc_lo
	v_add_co_u32 v16, vcc_lo, v7, 1
	v_add_co_ci_u32_e32 v17, vcc_lo, 0, v12, vcc_lo
	v_cmp_ne_u32_e32 vcc_lo, 0, v13
	v_cndmask_b32_e32 v5, v17, v15, vcc_lo
	v_cndmask_b32_e32 v13, v16, v14, vcc_lo
	v_cmp_ne_u32_e32 vcc_lo, 0, v4
	v_cndmask_b32_e32 v5, v12, v5, vcc_lo
	v_cndmask_b32_e32 v4, v7, v13, vcc_lo
.LBB0_4:                                ;   in Loop: Header=BB0_2 Depth=1
	s_andn2_saveexec_b32 s0, s1
	s_cbranch_execz .LBB0_6
; %bb.5:                                ;   in Loop: Header=BB0_2 Depth=1
	v_cvt_f32_u32_e32 v4, s24
	s_sub_i32 s1, 0, s24
	v_rcp_iflag_f32_e32 v4, v4
	v_mul_f32_e32 v4, 0x4f7ffffe, v4
	v_cvt_u32_f32_e32 v4, v4
	v_mul_lo_u32 v5, s1, v4
	v_mul_hi_u32 v5, v4, v5
	v_add_nc_u32_e32 v4, v4, v5
	v_mul_hi_u32 v4, v10, v4
	v_mul_lo_u32 v5, v4, s24
	v_add_nc_u32_e32 v7, 1, v4
	v_sub_nc_u32_e32 v5, v10, v5
	v_subrev_nc_u32_e32 v12, s24, v5
	v_cmp_le_u32_e32 vcc_lo, s24, v5
	v_cndmask_b32_e32 v5, v5, v12, vcc_lo
	v_cndmask_b32_e32 v4, v4, v7, vcc_lo
	v_cmp_le_u32_e32 vcc_lo, s24, v5
	v_add_nc_u32_e32 v7, 1, v4
	v_mov_b32_e32 v5, v3
	v_cndmask_b32_e32 v4, v4, v7, vcc_lo
.LBB0_6:                                ;   in Loop: Header=BB0_2 Depth=1
	s_or_b32 exec_lo, exec_lo, s0
	v_mul_lo_u32 v7, v5, s24
	v_mul_lo_u32 v14, v4, s25
	s_load_dwordx2 s[0:1], s[6:7], 0x0
	v_mad_u64_u32 v[12:13], null, v4, s24, 0
	s_load_dwordx2 s[24:25], s[2:3], 0x0
	s_add_u32 s22, s22, 1
	s_addc_u32 s23, s23, 0
	s_add_u32 s2, s2, 8
	s_addc_u32 s3, s3, 0
	s_add_u32 s6, s6, 8
	v_add3_u32 v7, v13, v14, v7
	v_sub_co_u32 v10, vcc_lo, v10, v12
	s_addc_u32 s7, s7, 0
	s_add_u32 s20, s20, 8
	v_sub_co_ci_u32_e32 v7, vcc_lo, v11, v7, vcc_lo
	s_addc_u32 s21, s21, 0
	s_waitcnt lgkmcnt(0)
	v_mul_lo_u32 v11, s0, v7
	v_mul_lo_u32 v12, s1, v10
	v_mad_u64_u32 v[8:9], null, s0, v10, v[8:9]
	v_mul_lo_u32 v7, s24, v7
	v_mul_lo_u32 v13, s25, v10
	v_mad_u64_u32 v[1:2], null, s24, v10, v[1:2]
	v_cmp_ge_u64_e64 s0, s[22:23], s[14:15]
	v_add3_u32 v9, v12, v9, v11
	v_add3_u32 v2, v13, v2, v7
	s_and_b32 vcc_lo, exec_lo, s0
	s_cbranch_vccnz .LBB0_8
; %bb.7:                                ;   in Loop: Header=BB0_2 Depth=1
	v_mov_b32_e32 v11, v5
	v_mov_b32_e32 v10, v4
	s_branch .LBB0_2
.LBB0_8:
	s_load_dwordx2 s[0:1], s[4:5], 0x28
	v_mul_hi_u32 v33, 0xf0f0f10, v0
	s_lshl_b64 s[4:5], s[14:15], 3
                                        ; implicit-def: $sgpr6
                                        ; implicit-def: $vgpr3
	s_add_u32 s2, s18, s4
	s_addc_u32 s3, s19, s5
	s_waitcnt lgkmcnt(0)
	v_cmp_gt_u64_e32 vcc_lo, s[0:1], v[4:5]
	v_cmp_le_u64_e64 s0, s[0:1], v[4:5]
	s_and_saveexec_b32 s1, s0
	s_xor_b32 s0, exec_lo, s1
; %bb.9:
	v_mul_u32_u24_e32 v3, 17, v33
	s_mov_b32 s6, 0
                                        ; implicit-def: $vgpr33
                                        ; implicit-def: $vgpr8_vgpr9
	v_sub_nc_u32_e32 v3, v0, v3
                                        ; implicit-def: $vgpr0
; %bb.10:
	s_or_saveexec_b32 s1, s0
	v_mov_b32_e32 v7, s6
	v_mov_b32_e32 v18, s6
	;; [unrolled: 1-line block ×8, first 2 shown]
                                        ; implicit-def: $vgpr10
                                        ; implicit-def: $vgpr22
                                        ; implicit-def: $vgpr20
                                        ; implicit-def: $vgpr11
                                        ; implicit-def: $vgpr23
                                        ; implicit-def: $vgpr25
                                        ; implicit-def: $vgpr21
                                        ; implicit-def: $vgpr19
                                        ; implicit-def: $vgpr29
                                        ; implicit-def: $vgpr31
                                        ; implicit-def: $vgpr24
                                        ; implicit-def: $vgpr26
                                        ; implicit-def: $vgpr30
                                        ; implicit-def: $vgpr32
                                        ; implicit-def: $vgpr27
                                        ; implicit-def: $vgpr28
	s_xor_b32 exec_lo, exec_lo, s1
	s_cbranch_execz .LBB0_12
; %bb.11:
	s_add_u32 s4, s16, s4
	s_addc_u32 s5, s17, s5
	s_load_dwordx2 s[4:5], s[4:5], 0x0
	s_waitcnt lgkmcnt(0)
	v_mul_lo_u32 v3, s5, v4
	v_mul_lo_u32 v7, s4, v5
	v_mad_u64_u32 v[10:11], null, s4, v4, 0
	v_add3_u32 v11, v11, v7, v3
	v_mul_u32_u24_e32 v3, 17, v33
	v_lshlrev_b64 v[7:8], 2, v[8:9]
	v_lshlrev_b64 v[10:11], 2, v[10:11]
	v_sub_nc_u32_e32 v3, v0, v3
	v_add_co_u32 v0, s0, s8, v10
	v_add_co_ci_u32_e64 v9, s0, s9, v11, s0
	v_lshlrev_b32_e32 v10, 2, v3
	v_add_co_u32 v0, s0, v0, v7
	v_add_co_ci_u32_e64 v7, s0, v9, v8, s0
	v_add_co_u32 v8, s0, v0, v10
	v_add_co_ci_u32_e64 v9, s0, 0, v7, s0
	s_clause 0xf
	global_load_dword v22, v[8:9], off offset:544
	global_load_dword v11, v[8:9], off offset:612
	;; [unrolled: 1-line block ×8, first 2 shown]
	global_load_dword v7, v[8:9], off
	global_load_dword v12, v[8:9], off offset:68
	global_load_dword v16, v[8:9], off offset:136
	;; [unrolled: 1-line block ×7, first 2 shown]
	s_waitcnt vmcnt(15)
	v_lshrrev_b32_e32 v10, 16, v22
	s_waitcnt vmcnt(14)
	v_lshrrev_b32_e32 v20, 16, v11
	s_waitcnt vmcnt(13)
	v_lshrrev_b32_e32 v23, 16, v25
	s_waitcnt vmcnt(12)
	v_lshrrev_b32_e32 v21, 16, v19
	s_waitcnt vmcnt(11)
	v_lshrrev_b32_e32 v29, 16, v31
	s_waitcnt vmcnt(10)
	v_lshrrev_b32_e32 v24, 16, v26
	s_waitcnt vmcnt(9)
	v_lshrrev_b32_e32 v30, 16, v32
	s_waitcnt vmcnt(8)
	v_lshrrev_b32_e32 v27, 16, v28
.LBB0_12:
	s_or_b32 exec_lo, exec_lo, s1
	v_mul_hi_u32 v0, 0x24924925, v6
	s_waitcnt vmcnt(6)
	v_sub_f16_e32 v36, v12, v11
	v_sub_f16_e32 v22, v7, v22
	s_waitcnt vmcnt(3)
	v_sub_f16_e32 v8, v18, v31
	v_sub_f16_e32 v25, v16, v25
	s_waitcnt vmcnt(1)
	v_sub_f16_e32 v32, v17, v32
	v_lshrrev_b32_e32 v9, 16, v18
	v_lshrrev_b32_e32 v31, 16, v16
	v_sub_nc_u32_e32 v34, v6, v0
	v_lshrrev_b32_e32 v33, 16, v17
	v_lshrrev_b32_e32 v35, 16, v12
	;; [unrolled: 1-line block ×3, first 2 shown]
	v_sub_f16_e32 v26, v15, v26
	v_lshrrev_b32_e32 v11, 1, v34
	v_lshrrev_b32_e32 v34, 16, v14
	s_waitcnt vmcnt(0)
	v_lshrrev_b32_e32 v38, 16, v13
	v_fma_f16 v39, v7, 2.0, -v22
	v_fma_f16 v18, v18, 2.0, -v8
	v_add_nc_u32_e32 v0, v11, v0
	v_fma_f16 v16, v16, 2.0, -v25
	v_fma_f16 v17, v17, 2.0, -v32
	v_sub_f16_e32 v19, v14, v19
	v_sub_f16_e32 v28, v13, v28
	v_lshrrev_b32_e32 v0, 2, v0
	v_sub_f16_e32 v11, v9, v29
	v_sub_f16_e32 v23, v31, v23
	;; [unrolled: 1-line block ×4, first 2 shown]
	v_mul_lo_u32 v0, v0, 7
	v_fma_f16 v30, v12, 2.0, -v36
	v_sub_f16_e32 v24, v37, v24
	v_fma_f16 v15, v15, 2.0, -v26
	v_sub_f16_e32 v40, v34, v21
	v_sub_f16_e32 v27, v38, v27
	v_fma_f16 v14, v14, 2.0, -v19
	v_fma_f16 v12, v31, 2.0, -v23
	v_sub_nc_u32_e32 v0, v6, v0
	v_sub_f16_e32 v6, v16, v17
	v_fma_f16 v21, v33, 2.0, -v29
	v_fma_f16 v31, v35, 2.0, -v20
	;; [unrolled: 1-line block ×3, first 2 shown]
	v_mul_u32_u24_e32 v41, 0x110, v0
	v_sub_f16_e32 v0, v39, v18
	v_fma_f16 v18, v34, 2.0, -v40
	v_fma_f16 v13, v13, 2.0, -v28
	v_sub_f16_e32 v34, v22, v11
	v_fma_f16 v35, v38, 2.0, -v27
	v_fma_f16 v37, v39, 2.0, -v0
	v_sub_f16_e32 v29, v25, v29
	v_fma_f16 v16, v16, 2.0, -v6
	v_sub_f16_e32 v39, v30, v15
	v_sub_f16_e32 v42, v36, v24
	v_add_f16_e32 v26, v20, v26
	v_sub_f16_e32 v27, v19, v27
	v_add_f16_e32 v28, v40, v28
	v_fma_f16 v22, v22, 2.0, -v34
	v_add_f16_e32 v32, v23, v32
	v_fma_f16 v17, v25, 2.0, -v29
	v_sub_f16_e32 v33, v31, v33
	v_fma_f16 v25, v30, 2.0, -v39
	v_sub_f16_e32 v30, v14, v13
	v_fma_f16 v13, v36, 2.0, -v42
	v_fma_f16 v20, v20, 2.0, -v26
	v_sub_f16_e32 v46, v37, v16
	v_fma_f16 v36, v19, 2.0, -v27
	;; [unrolled: 3-line block ×4, first 2 shown]
	v_fmamk_f16 v48, v17, 0xb9a8, v22
	v_fma_f16 v40, v37, 2.0, -v46
	v_fmamk_f16 v51, v29, 0x39a8, v34
	v_fmamk_f16 v14, v36, 0xb9a8, v13
	;; [unrolled: 1-line block ×4, first 2 shown]
	v_fma_f16 v16, v18, 2.0, -v31
	v_fmac_f16_e32 v48, 0xb9a8, v23
	v_sub_f16_e32 v50, v0, v21
	v_fmac_f16_e32 v51, 0xb9a8, v32
	v_sub_f16_e32 v18, v25, v35
	v_fmac_f16_e32 v14, 0xb9a8, v38
	v_fmac_f16_e32 v19, 0x39a8, v36
	v_sub_f16_e32 v52, v39, v31
	v_fmamk_f16 v38, v28, 0x39a8, v26
	v_fmac_f16_e32 v37, 0xb9a8, v28
	v_mul_f16_e32 v15, 0x39a8, v17
	v_mul_f16_e32 v17, 0x39a8, v23
	v_fma_f16 v23, v22, 2.0, -v48
	v_fma_f16 v49, v0, 2.0, -v50
	;; [unrolled: 1-line block ×5, first 2 shown]
	v_add_f16_e32 v53, v33, v30
	v_fma_f16 v25, v20, 2.0, -v19
	v_fma_f16 v20, v39, 2.0, -v52
	v_fmac_f16_e32 v38, 0x39a8, v27
	v_fma_f16 v43, v42, 2.0, -v37
	v_mul_f16_e32 v22, 0x39a8, v29
	v_mul_f16_e32 v44, 0x39a8, v32
	v_fma_f16 v30, v33, 2.0, -v53
	v_fmamk_f16 v32, v13, 0xbb64, v23
	v_fmamk_f16 v31, v20, 0xb9a8, v49
	v_fma_f16 v39, v26, 2.0, -v38
	v_fmamk_f16 v29, v43, 0xb61f, v34
	v_sub_f16_e32 v45, v24, v16
	v_fmamk_f16 v26, v14, 0x361f, v48
	v_fmamk_f16 v28, v52, 0x39a8, v50
	;; [unrolled: 1-line block ×3, first 2 shown]
	s_load_dwordx2 s[2:3], s[2:3], 0x0
	v_sub_f16_e32 v33, v40, v0
	v_fmac_f16_e32 v32, 0xb61f, v25
	v_fmac_f16_e32 v31, 0xb9a8, v30
	;; [unrolled: 1-line block ×3, first 2 shown]
	v_sub_f16_e32 v27, v46, v45
	v_fmac_f16_e32 v26, 0xbb64, v19
	v_fmac_f16_e32 v28, 0xb9a8, v53
	;; [unrolled: 1-line block ×3, first 2 shown]
	v_fma_f16 v0, v40, 2.0, -v33
	v_fma_f16 v16, v23, 2.0, -v32
	v_mul_f16_e32 v42, 0x39a8, v20
	v_fma_f16 v20, v49, 2.0, -v31
	v_fma_f16 v23, v34, 2.0, -v29
	v_lshl_add_u32 v49, v3, 5, 0
	v_mul_f16_e32 v47, 0x39a8, v30
	v_fma_f16 v30, v46, 2.0, -v27
	v_fma_f16 v34, v48, 2.0, -v26
	;; [unrolled: 1-line block ×4, first 2 shown]
	v_lshl_add_u32 v54, v41, 1, v49
	v_pack_b32_f16 v50, v20, v23
	v_pack_b32_f16 v51, v0, v16
	v_mul_f16_e32 v46, 0x39a8, v53
	v_pack_b32_f16 v53, v31, v29
	v_pack_b32_f16 v56, v33, v32
	v_mul_f16_e32 v48, 0x39a8, v52
	v_pack_b32_f16 v52, v35, v40
	v_pack_b32_f16 v55, v30, v34
	ds_write2_b32 v54, v51, v50 offset1:1
	ds_write2_b32 v54, v55, v52 offset0:2 offset1:3
	v_pack_b32_f16 v50, v28, v36
	v_pack_b32_f16 v51, v27, v26
	ds_write2_b32 v54, v56, v53 offset0:4 offset1:5
	v_cmp_gt_u32_e64 s0, 16, v3
	v_lshlrev_b32_e32 v55, 1, v41
	v_lshlrev_b32_e32 v56, 1, v3
	ds_write2_b32 v54, v51, v50 offset0:6 offset1:7
	s_waitcnt lgkmcnt(0)
	s_barrier
	buffer_gl0_inv
                                        ; implicit-def: $vgpr41
	s_and_saveexec_b32 s1, s0
	s_cbranch_execz .LBB0_14
; %bb.13:
	v_mul_i32_i24_e32 v0, 0xffffffe2, v3
	v_add3_u32 v16, 0, v55, v56
	v_add3_u32 v41, v49, v0, v55
	ds_read_u16 v0, v16
	ds_read_u16 v16, v41 offset:32
	ds_read_u16 v20, v41 offset:64
	;; [unrolled: 1-line block ×16, first 2 shown]
.LBB0_14:
	s_or_b32 exec_lo, exec_lo, s1
	v_lshrrev_b32_e32 v7, 16, v7
	v_fma_f16 v9, v9, 2.0, -v11
	v_fma_f16 v11, v12, 2.0, -v21
	;; [unrolled: 1-line block ×3, first 2 shown]
	s_waitcnt lgkmcnt(0)
	v_sub_f16_e32 v10, v7, v10
	s_barrier
	buffer_gl0_inv
	v_add_f16_e32 v8, v10, v8
	v_fma_f16 v7, v7, 2.0, -v10
	v_fma_f16 v10, v10, 2.0, -v8
	v_sub_f16_e32 v9, v7, v9
	v_add_f16_e32 v21, v8, v44
	v_sub_f16_e32 v17, v10, v17
	v_add_f16_e32 v6, v9, v6
	v_fma_f16 v7, v7, 2.0, -v9
	v_add_f16_e32 v21, v22, v21
	v_add_f16_e32 v15, v15, v17
	v_fma_f16 v9, v9, 2.0, -v6
	v_sub_f16_e32 v11, v7, v11
	v_fma_f16 v8, v8, 2.0, -v21
	v_add_f16_e32 v17, v6, v46
	v_fma_f16 v10, v10, 2.0, -v15
	v_fmamk_f16 v46, v38, 0x3b64, v21
	v_sub_f16_e32 v22, v9, v47
	v_fmamk_f16 v47, v19, 0x361f, v15
	v_fma_f16 v7, v7, 2.0, -v11
	v_fmamk_f16 v39, v39, 0xb61f, v8
	v_fmamk_f16 v38, v25, 0xbb64, v10
	v_add_f16_e32 v44, v11, v18
	v_add_f16_e32 v49, v48, v17
	v_fmac_f16_e32 v46, 0x361f, v37
	v_fmac_f16_e32 v47, 0x3b64, v14
	v_sub_f16_e32 v37, v7, v12
	v_add_f16_e32 v42, v42, v22
	v_fmac_f16_e32 v39, 0x3b64, v43
	v_fmac_f16_e32 v38, 0x361f, v13
	v_fma_f16 v48, v11, 2.0, -v44
	v_fma_f16 v45, v6, 2.0, -v49
	;; [unrolled: 1-line block ×8, first 2 shown]
	v_pack_b32_f16 v7, v45, v43
	v_pack_b32_f16 v10, v48, v50
	;; [unrolled: 1-line block ×8, first 2 shown]
	ds_write2_b32 v54, v10, v7 offset0:2 offset1:3
	ds_write2_b32 v54, v12, v8 offset0:4 offset1:5
	ds_write2_b32 v54, v13, v9 offset1:1
	ds_write2_b32 v54, v14, v11 offset0:6 offset1:7
	s_waitcnt lgkmcnt(0)
	s_barrier
	buffer_gl0_inv
                                        ; implicit-def: $vgpr54
	s_and_saveexec_b32 s1, s0
	s_cbranch_execz .LBB0_16
; %bb.15:
	v_add3_u32 v6, 0, v55, v56
	v_add3_u32 v7, 0, v56, v55
	ds_read_u16 v6, v6
	ds_read_u16 v53, v7 offset:32
	ds_read_u16 v51, v7 offset:64
	ds_read_u16 v52, v7 offset:96
	ds_read_u16 v48, v7 offset:128
	ds_read_u16 v50, v7 offset:160
	ds_read_u16 v45, v7 offset:192
	ds_read_u16 v43, v7 offset:224
	ds_read_u16 v37, v7 offset:256
	ds_read_u16 v38, v7 offset:288
	ds_read_u16 v42, v7 offset:320
	ds_read_u16 v39, v7 offset:352
	ds_read_u16 v44, v7 offset:384
	ds_read_u16 v47, v7 offset:416
	ds_read_u16 v49, v7 offset:448
	ds_read_u16 v46, v7 offset:480
	ds_read_u16 v54, v7 offset:512
.LBB0_16:
	s_or_b32 exec_lo, exec_lo, s1
	v_cmp_gt_u32_e64 s0, 16, v3
	s_and_b32 s0, vcc_lo, s0
	s_and_saveexec_b32 s1, s0
	s_cbranch_execz .LBB0_18
; %bb.17:
	v_lshlrev_b32_e32 v7, 4, v3
	v_mul_lo_u32 v8, s2, v5
	v_and_b32_e32 v7, 0xf0, v7
	v_lshlrev_b32_e32 v7, 2, v7
	s_clause 0x3
	global_load_dwordx4 v[55:58], v7, s[12:13]
	global_load_dwordx4 v[59:62], v7, s[12:13] offset:48
	global_load_dwordx4 v[63:66], v7, s[12:13] offset:32
	;; [unrolled: 1-line block ×3, first 2 shown]
	v_mul_lo_u32 v7, s3, v4
	v_mad_u64_u32 v[4:5], null, s2, v4, 0
	v_add3_u32 v5, v5, v8, v7
	s_waitcnt vmcnt(3)
	v_lshrrev_b32_e32 v71, 16, v55
	v_lshrrev_b32_e32 v74, 16, v58
	s_waitcnt lgkmcnt(15)
	v_mul_f16_e32 v19, v53, v55
	s_waitcnt vmcnt(2)
	v_lshrrev_b32_e32 v75, 16, v62
	s_waitcnt lgkmcnt(0)
	v_mul_f16_e32 v7, v54, v62
	v_lshrrev_b32_e32 v72, 16, v56
	v_lshrrev_b32_e32 v73, 16, v57
	v_mul_f16_e32 v17, v51, v56
	v_mul_f16_e32 v15, v52, v57
	;; [unrolled: 1-line block ×3, first 2 shown]
	v_lshrrev_b32_e32 v76, 16, v61
	v_mul_f16_e32 v8, v46, v61
	v_lshrrev_b32_e32 v77, 16, v60
	s_waitcnt vmcnt(1)
	v_lshrrev_b32_e32 v80, 16, v64
	s_waitcnt vmcnt(0)
	v_lshrrev_b32_e32 v84, 16, v68
	v_lshrrev_b32_e32 v86, 16, v70
	v_mul_f16_e32 v53, v53, v71
	v_mul_f16_e32 v48, v48, v74
	;; [unrolled: 1-line block ×3, first 2 shown]
	v_fmac_f16_e32 v7, v41, v75
	v_fmac_f16_e32 v19, v16, v71
	v_mul_f16_e32 v9, v49, v60
	v_lshrrev_b32_e32 v79, 16, v63
	v_lshrrev_b32_e32 v81, 16, v65
	;; [unrolled: 1-line block ×3, first 2 shown]
	v_mul_f16_e32 v21, v45, v68
	v_mul_f16_e32 v13, v42, v64
	;; [unrolled: 1-line block ×7, first 2 shown]
	v_fmac_f16_e32 v8, v36, v76
	v_fmac_f16_e32 v17, v20, v72
	;; [unrolled: 1-line block ×4, first 2 shown]
	v_mul_f16_e32 v45, v45, v84
	v_mul_f16_e32 v72, v42, v80
	;; [unrolled: 1-line block ×3, first 2 shown]
	v_fma_f16 v42, v16, v55, -v53
	v_fma_f16 v37, v30, v58, -v48
	;; [unrolled: 1-line block ×3, first 2 shown]
	v_add_f16_e32 v30, v7, v19
	v_lshrrev_b32_e32 v78, 16, v59
	v_mul_f16_e32 v10, v47, v59
	v_lshrrev_b32_e32 v85, 16, v69
	v_mul_f16_e32 v18, v50, v67
	v_mul_f16_e32 v12, v39, v65
	;; [unrolled: 1-line block ×3, first 2 shown]
	v_fmac_f16_e32 v9, v28, v77
	v_mul_f16_e32 v50, v50, v83
	v_fmac_f16_e32 v21, v35, v84
	v_mul_f16_e32 v71, v39, v81
	;; [unrolled: 2-line block ×3, first 2 shown]
	v_fma_f16 v39, v20, v56, -v51
	v_fma_f16 v38, v23, v57, -v52
	;; [unrolled: 1-line block ×4, first 2 shown]
	v_add_f16_e32 v28, v8, v17
	v_fma_f16 v35, v35, v68, -v45
	v_mul_f16_e32 v80, 0x39e9, v30
	v_sub_f16_e32 v68, v42, v16
	v_mul_f16_e32 v24, v43, v69
	v_mul_f16_e32 v47, v47, v78
	v_fmac_f16_e32 v10, v26, v78
	v_mul_f16_e32 v43, v43, v85
	v_fma_f16 v36, v34, v67, -v50
	v_sub_f16_e32 v41, v19, v7
	v_mul_f16_e32 v78, 0x2de8, v28
	v_sub_f16_e32 v67, v39, v20
	v_mul_f16_e32 v98, 0x3722, v30
	v_fmamk_f16 v115, v68, 0x3964, v80
	v_lshrrev_b32_e32 v82, 16, v66
	v_fmac_f16_e32 v18, v34, v83
	v_fmac_f16_e32 v24, v40, v85
	;; [unrolled: 1-line block ×3, first 2 shown]
	v_fma_f16 v34, v40, v69, -v43
	v_fma_f16 v33, v33, v70, -v73
	v_sub_f16_e32 v40, v17, v8
	v_add_f16_e32 v54, v16, v42
	v_mul_f16_e32 v73, 0xb964, v41
	v_mul_f16_e32 v88, 0xb8d2, v28
	;; [unrolled: 1-line block ×7, first 2 shown]
	v_fmamk_f16 v116, v67, 0x3bf7, v78
	v_fmamk_f16 v119, v68, 0x3b29, v98
	v_add_f16_e32 v115, v6, v115
	v_mul_f16_e32 v11, v44, v66
	v_mul_f16_e32 v44, v44, v82
	v_fmac_f16_e32 v12, v29, v81
	v_fma_f16 v26, v26, v59, -v47
	v_fma_f16 v29, v29, v65, -v71
	v_add_f16_e32 v43, v9, v15
	v_sub_f16_e32 v47, v15, v9
	v_add_f16_e32 v53, v20, v39
	v_mul_f16_e32 v71, 0xbbf7, v40
	v_mul_f16_e32 v103, 0xb1e1, v40
	v_mul_f16_e32 v148, 0xb461, v28
	v_mul_f16_e32 v147, 0x3bb2, v40
	v_fmamk_f16 v118, v54, 0x39e9, v73
	v_fmamk_f16 v123, v67, 0x3a62, v88
	;; [unrolled: 1-line block ×7, first 2 shown]
	v_add_f16_e32 v115, v115, v116
	v_add_f16_e32 v116, v6, v119
	v_fmac_f16_e32 v11, v27, v82
	v_fmac_f16_e32 v22, v32, v79
	v_fma_f16 v27, v27, v66, -v44
	v_fma_f16 v32, v32, v63, -v74
	v_add_f16_e32 v44, v10, v14
	v_sub_f16_e32 v49, v14, v10
	v_mul_f16_e32 v87, 0xba62, v40
	v_mul_f16_e32 v133, 0xbbb2, v41
	;; [unrolled: 1-line block ×3, first 2 shown]
	v_sub_f16_e32 v69, v38, v23
	v_add_f16_e32 v56, v23, v38
	v_mul_f16_e32 v74, 0xba62, v47
	v_mul_f16_e32 v93, 0xbbdd, v43
	;; [unrolled: 1-line block ×4, first 2 shown]
	v_fmamk_f16 v121, v53, 0x2de8, v71
	v_fmamk_f16 v146, v53, 0xbbdd, v103
	;; [unrolled: 1-line block ×4, first 2 shown]
	v_add_f16_e32 v118, v0, v118
	v_add_f16_e32 v119, v0, v124
	;; [unrolled: 1-line block ×8, first 2 shown]
	v_sub_f16_e32 v51, v18, v11
	v_mul_f16_e32 v168, 0x3722, v28
	v_sub_f16_e32 v70, v37, v26
	v_add_f16_e32 v57, v26, v37
	v_mul_f16_e32 v75, 0xb1e1, v49
	v_mul_f16_e32 v97, 0xb461, v44
	;; [unrolled: 1-line block ×4, first 2 shown]
	v_fmamk_f16 v125, v53, 0xb8d2, v87
	v_fmamk_f16 v179, v54, 0xb461, v133
	;; [unrolled: 1-line block ×7, first 2 shown]
	v_add_f16_e32 v118, v118, v121
	v_add_f16_e32 v123, v123, v146
	;; [unrolled: 1-line block ×4, first 2 shown]
	v_fma_f16 v31, v31, v64, -v72
	v_add_f16_e32 v46, v12, v21
	v_sub_f16_e32 v52, v21, v12
	v_mul_f16_e32 v166, 0xb836, v41
	v_mul_f16_e32 v167, 0x2de8, v43
	v_sub_f16_e32 v72, v36, v27
	v_add_f16_e32 v59, v27, v36
	v_mul_f16_e32 v76, 0x3836, v51
	v_mul_f16_e32 v94, 0x39e9, v45
	;; [unrolled: 1-line block ×4, first 2 shown]
	v_fmamk_f16 v186, v67, 0xbb29, v168
	v_fmamk_f16 v202, v57, 0xbbdd, v75
	;; [unrolled: 1-line block ×5, first 2 shown]
	v_add_f16_e32 v119, v119, v125
	v_add_f16_e32 v125, v0, v179
	;; [unrolled: 1-line block ×8, first 2 shown]
	v_sub_f16_e32 v55, v24, v13
	v_mul_f16_e32 v114, 0x2de8, v30
	v_mul_f16_e32 v138, 0xbacd, v28
	;; [unrolled: 1-line block ×4, first 2 shown]
	v_sub_f16_e32 v66, v35, v29
	v_add_f16_e32 v61, v29, v35
	v_mul_f16_e32 v77, 0x3bb2, v52
	v_mul_f16_e32 v99, 0x3b76, v46
	;; [unrolled: 1-line block ×4, first 2 shown]
	v_fmamk_f16 v187, v54, 0xbacd, v166
	v_fmamk_f16 v199, v69, 0x3bf7, v167
	;; [unrolled: 1-line block ×6, first 2 shown]
	v_add_f16_e32 v164, v179, v186
	v_add_f16_e32 v118, v118, v202
	;; [unrolled: 1-line block ×6, first 2 shown]
	v_sub_f16_e32 v58, v25, v22
	v_mul_f16_e32 v111, 0xbbdd, v28
	v_mul_f16_e32 v128, 0x3836, v40
	v_mul_f16_e32 v170, 0x3b76, v45
	v_sub_f16_e32 v65, v34, v31
	v_add_f16_e32 v62, v31, v34
	v_mul_f16_e32 v79, 0x3b29, v55
	v_mul_f16_e32 v102, 0x2de8, v48
	;; [unrolled: 1-line block ×5, first 2 shown]
	v_fmamk_f16 v130, v68, 0x3bf7, v114
	v_fmamk_f16 v178, v67, 0xb836, v138
	;; [unrolled: 1-line block ×8, first 2 shown]
	v_add_f16_e32 v181, v0, v187
	v_add_f16_e32 v164, v164, v199
	;; [unrolled: 1-line block ×6, first 2 shown]
	v_mul_f16_e32 v173, 0xbbdd, v46
	v_sub_f16_e32 v64, v33, v32
	v_add_f16_e32 v60, v32, v33
	v_mul_f16_e32 v63, 0x35c8, v58
	v_mul_f16_e32 v100, 0xbacd, v50
	;; [unrolled: 1-line block ×6, first 2 shown]
	v_fmamk_f16 v131, v67, 0x31e1, v111
	v_fmamk_f16 v180, v53, 0xbacd, v128
	;; [unrolled: 1-line block ×8, first 2 shown]
	v_add_f16_e32 v121, v6, v130
	v_add_f16_e32 v124, v124, v178
	;; [unrolled: 1-line block ×8, first 2 shown]
	v_mul_f16_e32 v172, 0x39e9, v48
	v_mul_f16_e32 v175, 0xb5c8, v51
	v_fmamk_f16 v233, v66, 0x31e1, v173
	v_fmamk_f16 v246, v60, 0x3b76, v63
	;; [unrolled: 1-line block ×5, first 2 shown]
	v_add_f16_e32 v121, v121, v131
	v_fmamk_f16 v131, v60, 0x3722, v162
	v_add_f16_e32 v125, v125, v180
	v_add_f16_e32 v178, v178, v201
	;; [unrolled: 1-line block ×7, first 2 shown]
	v_fmamk_f16 v180, v68, 0x31e1, v159
	v_mul_f16_e32 v181, 0x3b76, v28
	v_mul_f16_e32 v174, 0xb461, v50
	v_fmamk_f16 v244, v65, 0xb964, v172
	v_add_f16_e32 v164, v164, v233
	v_add_f16_e32 v116, v118, v246
	;; [unrolled: 1-line block ×4, first 2 shown]
	v_fmamk_f16 v179, v59, 0x3b76, v175
	v_mul_f16_e32 v182, 0xb1e1, v52
	v_add_f16_e32 v130, v136, v253
	v_add_f16_e32 v131, v146, v131
	;; [unrolled: 1-line block ×3, first 2 shown]
	v_fmamk_f16 v146, v67, 0xb5c8, v181
	v_mul_f16_e32 v180, 0xbacd, v43
	v_mul_f16_e32 v85, 0xb8d2, v43
	v_add_f16_e32 v164, v164, v244
	v_fmamk_f16 v183, v64, 0x3bb2, v174
	v_add_f16_e32 v178, v178, v179
	v_fmamk_f16 v179, v61, 0xbbdd, v182
	;; [unrolled: 2-line block ×3, first 2 shown]
	v_mul_f16_e32 v185, 0x39e9, v44
	v_mul_f16_e32 v186, 0x3964, v55
	;; [unrolled: 1-line block ×3, first 2 shown]
	v_fmamk_f16 v189, v69, 0x3a62, v85
	v_add_f16_e32 v136, v164, v183
	v_add_f16_e32 v164, v178, v179
	;; [unrolled: 1-line block ×3, first 2 shown]
	v_fmamk_f16 v178, v70, 0xb964, v185
	v_mul_f16_e32 v179, 0xb8d2, v45
	v_fmamk_f16 v183, v62, 0x39e9, v186
	v_mul_f16_e32 v187, 0xb1e1, v41
	v_mul_f16_e32 v110, 0xb461, v43
	v_mul_f16_e32 v106, 0x3bb2, v47
	v_mul_f16_e32 v143, 0x39e9, v43
	v_fmamk_f16 v192, v56, 0xbbdd, v91
	v_add_f16_e32 v115, v115, v189
	v_add_f16_e32 v146, v146, v178
	v_fmamk_f16 v178, v72, 0x3a62, v179
	v_mul_f16_e32 v188, 0x3722, v46
	v_add_f16_e32 v164, v164, v183
	v_fmamk_f16 v183, v54, 0xbbdd, v187
	v_mul_f16_e32 v189, 0x35c8, v40
	v_fmamk_f16 v193, v69, 0xbbb2, v110
	v_fmamk_f16 v194, v56, 0xb461, v106
	;; [unrolled: 1-line block ×3, first 2 shown]
	v_add_f16_e32 v119, v119, v192
	v_mul_f16_e32 v184, 0xbbb2, v58
	v_add_f16_e32 v146, v146, v178
	v_fmamk_f16 v178, v66, 0xbb29, v188
	v_mul_f16_e32 v190, 0xb461, v48
	v_add_f16_e32 v183, v0, v183
	v_fmamk_f16 v191, v53, 0x3b76, v189
	v_mul_f16_e32 v192, 0xb836, v47
	v_add_f16_e32 v121, v121, v193
	v_add_f16_e32 v123, v123, v194
	;; [unrolled: 1-line block ×3, first 2 shown]
	v_fmamk_f16 v193, v60, 0xb461, v184
	v_add_f16_e32 v178, v146, v178
	v_fmamk_f16 v194, v65, 0x3bb2, v190
	v_add_f16_e32 v183, v183, v191
	v_fmamk_f16 v191, v56, 0xbacd, v192
	v_mul_f16_e32 v195, 0x3964, v49
	v_mul_f16_e32 v127, 0x3964, v47
	v_add_f16_e32 v146, v164, v193
	v_add_f16_e32 v164, v178, v194
	v_fmac_f16_e32 v159, 0xb1e1, v68
	v_add_f16_e32 v178, v183, v191
	v_fmamk_f16 v183, v57, 0x39e9, v195
	v_mul_f16_e32 v191, 0xba62, v51
	v_fmamk_f16 v196, v56, 0x39e9, v127
	v_mul_f16_e32 v193, 0x2de8, v50
	v_add_f16_e32 v159, v6, v159
	v_fmac_f16_e32 v181, 0x35c8, v67
	v_add_f16_e32 v178, v178, v183
	v_fmamk_f16 v183, v59, 0xb8d2, v191
	v_mul_f16_e32 v194, 0x3b29, v52
	v_add_f16_e32 v125, v125, v196
	v_fmamk_f16 v196, v64, 0xbbf7, v193
	v_add_f16_e32 v181, v159, v181
	v_fmac_f16_e32 v180, 0xb836, v69
	v_add_f16_e32 v178, v178, v183
	v_fmamk_f16 v183, v61, 0x3722, v194
	v_mul_f16_e32 v197, 0xbbb2, v55
	v_fma_f16 v89, v54, 0x3722, -v89
	v_add_f16_e32 v19, v6, v19
	v_add_f16_e32 v159, v164, v196
	;; [unrolled: 1-line block ×3, first 2 shown]
	v_fmac_f16_e32 v185, 0x3964, v70
	v_add_f16_e32 v178, v178, v183
	v_fmamk_f16 v180, v62, 0xb461, v197
	v_mul_f16_e32 v181, 0x3bf7, v58
	v_fma_f16 v183, v54, 0xbbdd, -v187
	v_add_f16_e32 v89, v0, v89
	v_fma_f16 v87, v53, 0xb8d2, -v87
	v_add_f16_e32 v42, v0, v42
	v_add_f16_e32 v17, v19, v17
	v_mul_f16_e32 v90, 0x3bb2, v49
	v_add_f16_e32 v164, v164, v185
	v_fmac_f16_e32 v179, 0xba62, v72
	v_add_f16_e32 v178, v178, v180
	v_fmamk_f16 v180, v60, 0x2de8, v181
	v_add_f16_e32 v183, v0, v183
	v_fma_f16 v185, v53, 0x3b76, -v189
	v_add_f16_e32 v87, v89, v87
	v_fma_f16 v89, v56, 0xbbdd, -v91
	v_mul_f16_e32 v41, 0xb5c8, v41
	v_add_f16_e32 v39, v42, v39
	v_add_f16_e32 v15, v17, v15
	v_mul_f16_e32 v92, 0x3964, v51
	v_add_f16_e32 v179, v164, v179
	v_add_f16_e32 v164, v178, v180
	v_fmac_f16_e32 v171, 0xb836, v68
	v_add_f16_e32 v178, v183, v185
	v_fma_f16 v180, v56, 0xbacd, -v192
	v_fmac_f16_e32 v80, 0xb964, v68
	v_add_f16_e32 v87, v87, v89
	v_fma_f16 v89, v57, 0xb461, -v90
	v_fma_f16 v42, v54, 0x3b76, -v41
	v_mul_f16_e32 v40, 0xb964, v40
	v_add_f16_e32 v38, v39, v38
	v_add_f16_e32 v14, v15, v14
	v_mul_f16_e32 v95, 0xb5c8, v52
	v_add_f16_e32 v171, v6, v171
	v_fmac_f16_e32 v168, 0x3b29, v67
	v_add_f16_e32 v178, v178, v180
	v_fma_f16 v180, v57, 0x39e9, -v195
	v_add_f16_e32 v80, v6, v80
	v_fmac_f16_e32 v78, 0xbbf7, v67
	v_add_f16_e32 v87, v87, v89
	v_fma_f16 v89, v59, 0x39e9, -v92
	v_add_f16_e32 v19, v0, v42
	v_fma_f16 v39, v53, 0x39e9, -v40
	v_mul_f16_e32 v42, 0xbb29, v47
	v_add_f16_e32 v37, v38, v37
	v_add_f16_e32 v14, v14, v18
	v_mul_f16_e32 v84, 0xbbdd, v44
	v_mul_f16_e32 v101, 0xbbf7, v55
	v_add_f16_e32 v171, v171, v168
	v_fmac_f16_e32 v167, 0xbbf7, v69
	v_add_f16_e32 v178, v178, v180
	v_fma_f16 v180, v59, 0xb8d2, -v191
	v_add_f16_e32 v78, v80, v78
	v_fmac_f16_e32 v85, 0xba62, v69
	v_add_f16_e32 v80, v87, v89
	v_fma_f16 v87, v61, 0x3b76, -v95
	v_add_f16_e32 v17, v19, v39
	v_fma_f16 v19, v56, 0x3722, -v42
	v_mul_f16_e32 v38, 0xbbf7, v49
	v_add_f16_e32 v36, v37, v36
	v_add_f16_e32 v14, v14, v21
	v_mul_f16_e32 v96, 0xb836, v58
	v_fmamk_f16 v200, v70, 0x31e1, v84
	v_fma_f16 v166, v54, 0xbacd, -v166
	v_add_f16_e32 v167, v171, v167
	v_fmac_f16_e32 v169, 0x3a62, v70
	v_add_f16_e32 v171, v178, v180
	v_fma_f16 v178, v61, 0x3722, -v194
	v_add_f16_e32 v78, v78, v85
	v_fmac_f16_e32 v84, 0xb1e1, v70
	v_add_f16_e32 v80, v80, v87
	v_fma_f16 v85, v62, 0x2de8, -v101
	v_fma_f16 v73, v54, 0x39e9, -v73
	v_add_f16_e32 v15, v17, v19
	v_fma_f16 v17, v57, 0x2de8, -v38
	v_mul_f16_e32 v19, 0xbbb2, v51
	v_add_f16_e32 v35, v36, v35
	v_add_f16_e32 v14, v14, v24
	;; [unrolled: 1-line block ×3, first 2 shown]
	v_fma_f16 v165, v53, 0x3722, -v165
	v_add_f16_e32 v167, v167, v169
	v_fmac_f16_e32 v170, 0xb5c8, v72
	v_add_f16_e32 v169, v171, v178
	v_fma_f16 v171, v62, 0xb461, -v197
	v_fmac_f16_e32 v160, 0xba62, v68
	v_fmac_f16_e32 v141, 0xbbb2, v68
	;; [unrolled: 1-line block ×4, first 2 shown]
	v_add_f16_e32 v78, v78, v84
	v_add_f16_e32 v80, v80, v85
	;; [unrolled: 1-line block ×3, first 2 shown]
	v_fma_f16 v71, v53, 0x2de8, -v71
	v_fma_f16 v84, v60, 0xbacd, -v96
	v_mul_f16_e32 v68, 0xb5c8, v68
	v_add_f16_e32 v15, v15, v17
	v_fma_f16 v17, v59, 0xb461, -v19
	v_mul_f16_e32 v18, 0xba62, v52
	v_add_f16_e32 v34, v35, v34
	v_add_f16_e32 v14, v14, v25
	;; [unrolled: 1-line block ×3, first 2 shown]
	v_fma_f16 v166, v56, 0x2de8, -v177
	v_add_f16_e32 v167, v167, v170
	v_add_f16_e32 v169, v169, v171
	v_fma_f16 v170, v60, 0x2de8, -v181
	v_fmac_f16_e32 v148, 0x3bb2, v67
	v_fmac_f16_e32 v138, 0x3836, v67
	;; [unrolled: 1-line block ×4, first 2 shown]
	v_add_f16_e32 v71, v73, v71
	v_fma_f16 v73, v56, 0xb8d2, -v74
	v_add_f16_e32 v74, v80, v84
	v_fmamk_f16 v80, v30, 0x3b76, v68
	v_mul_f16_e32 v67, 0xb964, v67
	v_add_f16_e32 v15, v15, v17
	v_fma_f16 v17, v61, 0xb8d2, -v18
	v_mul_f16_e32 v21, 0xb836, v55
	v_add_f16_e32 v33, v34, v33
	v_add_f16_e32 v14, v22, v14
	v_fma_f16 v22, v30, 0x3b76, -v68
	v_mul_f16_e32 v113, 0x3b76, v44
	v_mul_f16_e32 v139, 0x3722, v44
	v_add_f16_e32 v166, v165, v166
	v_add_f16_e32 v165, v169, v170
	;; [unrolled: 1-line block ×3, first 2 shown]
	v_fma_f16 v149, v54, 0xb8d2, -v149
	v_fmac_f16_e32 v153, 0xb5c8, v69
	v_add_f16_e32 v141, v6, v141
	v_fmac_f16_e32 v143, 0x3964, v69
	v_fma_f16 v133, v54, 0xb461, -v133
	v_add_f16_e32 v114, v6, v114
	v_fmac_f16_e32 v110, 0x3bb2, v69
	v_fma_f16 v104, v54, 0x2de8, -v104
	v_add_f16_e32 v98, v6, v98
	v_fmac_f16_e32 v93, 0x31e1, v69
	v_add_f16_e32 v71, v71, v73
	v_fma_f16 v73, v57, 0xbbdd, -v75
	v_add_f16_e32 v75, v6, v80
	v_mul_f16_e32 v69, 0xbb29, v69
	v_add_f16_e32 v15, v15, v17
	v_fma_f16 v17, v62, 0xbacd, -v21
	v_mul_f16_e32 v24, 0xb1e1, v58
	v_add_f16_e32 v32, v32, v33
	v_fmac_f16_e32 v41, 0x3b76, v54
	v_add_f16_e32 v13, v13, v14
	v_add_f16_e32 v6, v6, v22
	v_fma_f16 v14, v28, 0x39e9, -v67
	v_mul_f16_e32 v86, 0xbacd, v45
	v_mul_f16_e32 v117, 0x3722, v45
	;; [unrolled: 1-line block ×3, first 2 shown]
	v_fmamk_f16 v205, v70, 0xb5c8, v113
	v_fmamk_f16 v207, v70, 0x3b29, v139
	v_add_f16_e32 v149, v0, v149
	v_fmac_f16_e32 v156, 0xb836, v70
	v_fmac_f16_e32 v139, 0xbb29, v70
	v_add_f16_e32 v133, v0, v133
	v_fmac_f16_e32 v113, 0x35c8, v70
	v_add_f16_e32 v104, v0, v104
	v_fmac_f16_e32 v97, 0x3bb2, v70
	v_mul_f16_e32 v70, 0xbbf7, v70
	v_add_f16_e32 v15, v15, v17
	v_fma_f16 v17, v60, 0xbbdd, -v24
	v_add_f16_e32 v31, v31, v32
	v_add_f16_e32 v0, v0, v41
	v_fmac_f16_e32 v40, 0x39e9, v53
	v_add_f16_e32 v12, v12, v13
	v_add_f16_e32 v6, v6, v14
	v_fma_f16 v13, v43, 0x3722, -v69
	v_fmamk_f16 v80, v28, 0x39e9, v67
	v_mul_f16_e32 v82, 0xb461, v46
	v_mul_f16_e32 v122, 0xbacd, v46
	;; [unrolled: 1-line block ×3, first 2 shown]
	v_fmamk_f16 v212, v72, 0xb836, v86
	v_fmamk_f16 v216, v72, 0x3b29, v117
	v_fmamk_f16 v218, v72, 0x31e1, v144
	v_fmac_f16_e32 v154, 0x3bf7, v72
	v_fmac_f16_e32 v144, 0xb1e1, v72
	;; [unrolled: 1-line block ×5, first 2 shown]
	v_mul_f16_e32 v72, 0xbbb2, v72
	v_add_f16_e32 v15, v15, v17
	v_add_f16_e32 v17, v29, v31
	;; [unrolled: 1-line block ×3, first 2 shown]
	v_fmac_f16_e32 v42, 0x3722, v56
	v_add_f16_e32 v11, v11, v12
	v_add_f16_e32 v6, v6, v13
	v_fma_f16 v12, v44, 0x2de8, -v70
	v_add_f16_e32 v71, v71, v73
	v_fma_f16 v73, v59, 0xbacd, -v76
	v_add_f16_e32 v75, v75, v80
	v_fmamk_f16 v76, v43, 0x3722, v69
	v_fmamk_f16 v223, v66, 0xbbb2, v82
	;; [unrolled: 1-line block ×4, first 2 shown]
	v_fmac_f16_e32 v188, 0x3b29, v66
	v_fmac_f16_e32 v173, 0xb1e1, v66
	;; [unrolled: 1-line block ×4, first 2 shown]
	v_fma_f16 v103, v53, 0xbbdd, -v103
	v_fmac_f16_e32 v122, 0xb836, v66
	v_fmac_f16_e32 v99, 0xb5c8, v66
	;; [unrolled: 1-line block ×3, first 2 shown]
	v_mul_f16_e32 v66, 0xba62, v66
	v_add_f16_e32 v17, v27, v17
	v_add_f16_e32 v0, v0, v42
	v_fmac_f16_e32 v38, 0x2de8, v57
	v_add_f16_e32 v10, v10, v11
	v_add_f16_e32 v6, v6, v12
	v_fma_f16 v11, v45, 0xb461, -v72
	v_fma_f16 v128, v53, 0xbacd, -v128
	v_fma_f16 v147, v53, 0xb461, -v147
	v_add_f16_e32 v88, v98, v88
	v_add_f16_e32 v71, v71, v73
	v_fma_f16 v73, v61, 0xb461, -v77
	v_add_f16_e32 v75, v75, v76
	v_fmamk_f16 v76, v44, 0x2de8, v70
	v_mul_f16_e32 v108, 0x35c8, v49
	v_add_f16_e32 v111, v114, v111
	v_add_f16_e32 v103, v104, v103
	v_fma_f16 v104, v56, 0xb461, -v106
	v_mul_f16_e32 v39, 0xb836, v65
	v_add_f16_e32 v14, v26, v17
	v_add_f16_e32 v0, v0, v38
	v_fmac_f16_e32 v19, 0xb461, v59
	v_add_f16_e32 v9, v9, v10
	v_add_f16_e32 v6, v6, v11
	v_fma_f16 v10, v46, 0xb8d2, -v66
	v_mul_f16_e32 v132, 0xbb29, v49
	v_add_f16_e32 v138, v141, v138
	v_add_f16_e32 v128, v133, v128
	v_fma_f16 v127, v56, 0x39e9, -v127
	v_add_f16_e32 v148, v170, v148
	v_add_f16_e32 v149, v149, v147
	v_fma_f16 v151, v56, 0x3b76, -v151
	;; [unrolled: 3-line block ×3, first 2 shown]
	v_add_f16_e32 v75, v75, v76
	v_fmamk_f16 v76, v45, 0xb461, v72
	v_mul_f16_e32 v107, 0xbb29, v51
	v_add_f16_e32 v110, v111, v110
	v_add_f16_e32 v103, v103, v104
	v_fma_f16 v104, v57, 0x3b76, -v108
	v_add_f16_e32 v13, v23, v14
	v_add_f16_e32 v0, v0, v19
	v_fmac_f16_e32 v18, 0xb8d2, v61
	v_add_f16_e32 v8, v8, v9
	v_add_f16_e32 v6, v6, v10
	v_fma_f16 v9, v48, 0xbacd, -v39
	v_mul_f16_e32 v135, 0xb1e1, v51
	v_add_f16_e32 v138, v138, v143
	v_add_f16_e32 v127, v128, v127
	v_fma_f16 v128, v57, 0x3722, -v132
	v_add_f16_e32 v148, v148, v153
	v_add_f16_e32 v149, v149, v151
	v_fma_f16 v150, v57, 0xbacd, -v150
	v_fma_f16 v171, v57, 0xb8d2, -v176
	v_add_f16_e32 v88, v88, v97
	v_add_f16_e32 v71, v71, v73
	;; [unrolled: 1-line block ×3, first 2 shown]
	v_fmamk_f16 v75, v46, 0xb8d2, v66
	v_mul_f16_e32 v109, 0xb836, v52
	v_add_f16_e32 v110, v110, v113
	v_add_f16_e32 v103, v103, v104
	v_fma_f16 v104, v59, 0x3722, -v107
	v_add_f16_e32 v11, v20, v13
	v_add_f16_e32 v0, v0, v18
	v_fmac_f16_e32 v21, 0xbacd, v62
	v_add_f16_e32 v7, v7, v8
	v_add_f16_e32 v8, v6, v9
	v_lshlrev_b64 v[5:6], 2, v[4:5]
	v_mul_f16_e32 v129, 0x3bf7, v52
	v_add_f16_e32 v138, v138, v139
	v_add_f16_e32 v114, v127, v128
	v_fma_f16 v127, v59, 0xbbdd, -v135
	v_add_f16_e32 v148, v148, v156
	v_add_f16_e32 v149, v149, v150
	v_fma_f16 v150, v59, 0x2de8, -v152
	v_mul_f16_e32 v81, 0x3722, v48
	v_fmamk_f16 v208, v57, 0x3722, v132
	v_add_f16_e32 v167, v167, v173
	v_fmac_f16_e32 v172, 0x3964, v65
	v_add_f16_e32 v166, v166, v171
	v_fma_f16 v169, v59, 0x3b76, -v175
	v_add_f16_e32 v78, v78, v86
	v_fmamk_f16 v206, v57, 0x3b76, v108
	v_add_f16_e32 v88, v88, v94
	v_add_f16_e32 v47, v73, v75
	v_fmamk_f16 v37, v48, 0xbacd, v39
	v_mul_f16_e32 v35, 0xb1e1, v64
	v_mul_f16_e32 v120, 0xb8d2, v48
	;; [unrolled: 1-line block ×3, first 2 shown]
	v_fmamk_f16 v204, v57, 0xb461, v90
	v_add_f16_e32 v106, v110, v117
	v_add_f16_e32 v103, v103, v104
	v_fma_f16 v104, v61, 0xbacd, -v109
	v_add_f16_e32 v10, v16, v11
	v_add_f16_e32 v11, v0, v21
	v_mov_b32_e32 v4, 0
	v_lshlrev_b64 v[0:1], 2, v[1:2]
	v_mul_f16_e32 v142, 0x3b76, v48
	v_mul_f16_e32 v134, 0xb5c8, v55
	v_add_f16_e32 v138, v138, v144
	v_add_f16_e32 v111, v114, v127
	v_fma_f16 v114, v61, 0x2de8, -v129
	v_add_co_u32 v5, vcc_lo, s10, v5
	v_add_f16_e32 v148, v148, v154
	v_add_f16_e32 v141, v149, v150
	v_fma_f16 v149, v61, 0x39e9, -v155
	v_mul_f16_e32 v83, 0x3b76, v50
	v_fmamk_f16 v219, v59, 0xbbdd, v135
	v_fmamk_f16 v234, v65, 0xbb29, v81
	v_add_f16_e32 v124, v124, v207
	v_add_f16_e32 v125, v125, v208
	;; [unrolled: 1-line block ×3, first 2 shown]
	v_fmac_f16_e32 v174, 0xbbb2, v64
	v_add_f16_e32 v166, v166, v169
	v_fma_f16 v169, v61, 0xbbdd, -v182
	v_add_f16_e32 v78, v78, v82
	v_fmac_f16_e32 v81, 0x3b29, v65
	v_add_co_ci_u32_e32 v6, vcc_lo, s11, v6, vcc_lo
	v_fmamk_f16 v217, v59, 0x3722, v107
	v_add_f16_e32 v121, v121, v205
	v_add_f16_e32 v123, v123, v206
	;; [unrolled: 1-line block ×3, first 2 shown]
	v_fmac_f16_e32 v102, 0xbbf7, v65
	v_add_f16_e32 v36, v47, v37
	v_fmamk_f16 v34, v50, 0xbbdd, v35
	v_mul_f16_e32 v126, 0x39e9, v50
	v_mul_f16_e32 v112, 0x3964, v58
	v_fmamk_f16 v215, v59, 0x39e9, v92
	v_fmamk_f16 v238, v65, 0xba62, v120
	v_add_f16_e32 v119, v119, v204
	v_add_f16_e32 v106, v106, v122
	v_fmac_f16_e32 v120, 0x3a62, v65
	v_add_f16_e32 v98, v103, v104
	v_fma_f16 v103, v62, 0xb8d2, -v105
	v_lshlrev_b64 v[2:3], 2, v[3:4]
	v_mul_f16_e32 v145, 0xb8d2, v50
	v_mul_f16_e32 v137, 0xba62, v58
	v_fmamk_f16 v240, v65, 0x35c8, v142
	v_add_f16_e32 v115, v115, v200
	v_add_f16_e32 v133, v138, v140
	v_fmac_f16_e32 v142, 0xb5c8, v65
	v_add_f16_e32 v111, v111, v114
	v_fma_f16 v113, v62, 0x3b76, -v134
	v_add_co_u32 v0, vcc_lo, v5, v0
	v_add_f16_e32 v148, v148, v157
	v_fmac_f16_e32 v161, 0xb1e1, v65
	v_add_f16_e32 v141, v141, v149
	v_fma_f16 v143, v62, 0xbbdd, -v158
	v_fmamk_f16 v230, v61, 0x2de8, v129
	v_fmamk_f16 v245, v64, 0xb5c8, v83
	v_add_f16_e32 v124, v124, v218
	v_add_f16_e32 v125, v125, v219
	;; [unrolled: 1-line block ×4, first 2 shown]
	v_fma_f16 v167, v62, 0x39e9, -v186
	v_add_f16_e32 v78, v78, v81
	v_fmac_f16_e32 v83, 0x35c8, v64
	v_fma_f16 v12, v60, 0x3b76, -v63
	v_add_co_ci_u32_e32 v1, vcc_lo, v6, v1, vcc_lo
	v_fmamk_f16 v228, v61, 0xbacd, v109
	v_add_f16_e32 v121, v121, v216
	v_add_f16_e32 v123, v123, v217
	;; [unrolled: 1-line block ×3, first 2 shown]
	v_fmac_f16_e32 v190, 0xbbb2, v65
	v_add_f16_e32 v88, v88, v102
	v_fmac_f16_e32 v100, 0xb836, v64
	v_add_f16_e32 v25, v36, v34
	v_fmamk_f16 v226, v61, 0x3b76, v95
	v_fmamk_f16 v249, v64, 0xb964, v126
	v_add_f16_e32 v119, v119, v215
	v_add_f16_e32 v106, v106, v120
	v_fmac_f16_e32 v126, 0x3964, v64
	v_add_f16_e32 v93, v98, v103
	v_fma_f16 v98, v60, 0x39e9, -v112
	v_fmamk_f16 v251, v64, 0x3a62, v145
	v_add_f16_e32 v115, v115, v212
	v_add_f16_e32 v132, v133, v142
	v_fmac_f16_e32 v145, 0xba62, v64
	v_add_f16_e32 v110, v111, v113
	v_fma_f16 v111, v60, 0xb8d2, -v137
	v_add_co_u32 v0, vcc_lo, v0, v2
	v_add_f16_e32 v148, v148, v161
	v_fmac_f16_e32 v163, 0x3b29, v64
	v_add_f16_e32 v139, v141, v143
	v_fma_f16 v141, v60, 0x3722, -v162
	v_fmamk_f16 v241, v62, 0x3b76, v134
	v_add_f16_e32 v124, v124, v229
	v_add_f16_e32 v125, v125, v230
	;; [unrolled: 1-line block ×3, first 2 shown]
	v_fma_f16 v166, v60, 0xb461, -v184
	v_add_f16_e32 v77, v78, v83
	v_add_co_ci_u32_e32 v1, vcc_lo, v1, v3, vcc_lo
	v_pack_b32_f16 v2, v10, v7
	v_add_f16_e32 v4, v71, v12
	v_fmamk_f16 v239, v62, 0xb8d2, v105
	v_add_f16_e32 v121, v121, v227
	v_add_f16_e32 v123, v123, v228
	;; [unrolled: 1-line block ×3, first 2 shown]
	v_fmac_f16_e32 v193, 0x3bf7, v64
	v_add_f16_e32 v87, v88, v100
	v_pack_b32_f16 v3, v15, v25
	v_fmamk_f16 v237, v62, 0x2de8, v101
	v_add_f16_e32 v119, v119, v226
	v_add_f16_e32 v106, v106, v126
	;; [unrolled: 1-line block ×8, first 2 shown]
	v_fma_f16 v9, v50, 0xbbdd, -v35
	v_fmamk_f16 v252, v60, 0xb8d2, v137
	v_add_f16_e32 v124, v124, v240
	v_add_f16_e32 v125, v125, v241
	;; [unrolled: 1-line block ×3, first 2 shown]
	global_store_dword v[0:1], v2, off
	global_store_dword v[0:1], v3, off offset:64
	v_pack_b32_f16 v2, v4, v77
	v_fmamk_f16 v250, v60, 0x39e9, v112
	v_add_f16_e32 v121, v121, v238
	v_add_f16_e32 v123, v123, v239
	;; [unrolled: 1-line block ×3, first 2 shown]
	v_pack_b32_f16 v3, v74, v87
	v_fmamk_f16 v248, v60, 0xbacd, v96
	v_add_f16_e32 v119, v119, v237
	v_pack_b32_f16 v4, v91, v106
	v_add_f16_e32 v115, v115, v234
	v_pack_b32_f16 v7, v108, v128
	v_fmac_f16_e32 v24, 0xbbdd, v60
	v_add_f16_e32 v5, v8, v9
	v_pack_b32_f16 v8, v139, v148
	v_add_f16_e32 v124, v124, v251
	v_add_f16_e32 v125, v125, v252
	global_store_dword v[0:1], v2, off offset:128
	global_store_dword v[0:1], v3, off offset:192
	;; [unrolled: 1-line block ×5, first 2 shown]
	v_pack_b32_f16 v2, v147, v160
	v_add_f16_e32 v121, v121, v249
	v_add_f16_e32 v123, v123, v250
	v_pack_b32_f16 v3, v165, v168
	v_add_f16_e32 v119, v119, v248
	v_pack_b32_f16 v4, v164, v159
	;; [unrolled: 2-line block ×4, first 2 shown]
	global_store_dword v[0:1], v2, off offset:448
	global_store_dword v[0:1], v3, off offset:512
	;; [unrolled: 1-line block ×5, first 2 shown]
	v_pack_b32_f16 v2, v125, v124
	v_pack_b32_f16 v3, v123, v121
	;; [unrolled: 1-line block ×5, first 2 shown]
	global_store_dword v[0:1], v2, off offset:768
	global_store_dword v[0:1], v3, off offset:832
	;; [unrolled: 1-line block ×5, first 2 shown]
.LBB0_18:
	s_endpgm
	.section	.rodata,"a",@progbits
	.p2align	6, 0x0
	.amdhsa_kernel fft_rtc_fwd_len272_factors_16_17_wgs_119_tpt_17_halfLds_half_op_CI_CI_unitstride_sbrr_dirReg
		.amdhsa_group_segment_fixed_size 0
		.amdhsa_private_segment_fixed_size 0
		.amdhsa_kernarg_size 104
		.amdhsa_user_sgpr_count 6
		.amdhsa_user_sgpr_private_segment_buffer 1
		.amdhsa_user_sgpr_dispatch_ptr 0
		.amdhsa_user_sgpr_queue_ptr 0
		.amdhsa_user_sgpr_kernarg_segment_ptr 1
		.amdhsa_user_sgpr_dispatch_id 0
		.amdhsa_user_sgpr_flat_scratch_init 0
		.amdhsa_user_sgpr_private_segment_size 0
		.amdhsa_wavefront_size32 1
		.amdhsa_uses_dynamic_stack 0
		.amdhsa_system_sgpr_private_segment_wavefront_offset 0
		.amdhsa_system_sgpr_workgroup_id_x 1
		.amdhsa_system_sgpr_workgroup_id_y 0
		.amdhsa_system_sgpr_workgroup_id_z 0
		.amdhsa_system_sgpr_workgroup_info 0
		.amdhsa_system_vgpr_workitem_id 0
		.amdhsa_next_free_vgpr 254
		.amdhsa_next_free_sgpr 27
		.amdhsa_reserve_vcc 1
		.amdhsa_reserve_flat_scratch 0
		.amdhsa_float_round_mode_32 0
		.amdhsa_float_round_mode_16_64 0
		.amdhsa_float_denorm_mode_32 3
		.amdhsa_float_denorm_mode_16_64 3
		.amdhsa_dx10_clamp 1
		.amdhsa_ieee_mode 1
		.amdhsa_fp16_overflow 0
		.amdhsa_workgroup_processor_mode 1
		.amdhsa_memory_ordered 1
		.amdhsa_forward_progress 0
		.amdhsa_shared_vgpr_count 0
		.amdhsa_exception_fp_ieee_invalid_op 0
		.amdhsa_exception_fp_denorm_src 0
		.amdhsa_exception_fp_ieee_div_zero 0
		.amdhsa_exception_fp_ieee_overflow 0
		.amdhsa_exception_fp_ieee_underflow 0
		.amdhsa_exception_fp_ieee_inexact 0
		.amdhsa_exception_int_div_zero 0
	.end_amdhsa_kernel
	.text
.Lfunc_end0:
	.size	fft_rtc_fwd_len272_factors_16_17_wgs_119_tpt_17_halfLds_half_op_CI_CI_unitstride_sbrr_dirReg, .Lfunc_end0-fft_rtc_fwd_len272_factors_16_17_wgs_119_tpt_17_halfLds_half_op_CI_CI_unitstride_sbrr_dirReg
                                        ; -- End function
	.section	.AMDGPU.csdata,"",@progbits
; Kernel info:
; codeLenInByte = 8808
; NumSgprs: 29
; NumVgprs: 254
; ScratchSize: 0
; MemoryBound: 0
; FloatMode: 240
; IeeeMode: 1
; LDSByteSize: 0 bytes/workgroup (compile time only)
; SGPRBlocks: 3
; VGPRBlocks: 31
; NumSGPRsForWavesPerEU: 29
; NumVGPRsForWavesPerEU: 254
; Occupancy: 4
; WaveLimiterHint : 1
; COMPUTE_PGM_RSRC2:SCRATCH_EN: 0
; COMPUTE_PGM_RSRC2:USER_SGPR: 6
; COMPUTE_PGM_RSRC2:TRAP_HANDLER: 0
; COMPUTE_PGM_RSRC2:TGID_X_EN: 1
; COMPUTE_PGM_RSRC2:TGID_Y_EN: 0
; COMPUTE_PGM_RSRC2:TGID_Z_EN: 0
; COMPUTE_PGM_RSRC2:TIDIG_COMP_CNT: 0
	.text
	.p2alignl 6, 3214868480
	.fill 48, 4, 3214868480
	.type	__hip_cuid_1579ae2106374029,@object ; @__hip_cuid_1579ae2106374029
	.section	.bss,"aw",@nobits
	.globl	__hip_cuid_1579ae2106374029
__hip_cuid_1579ae2106374029:
	.byte	0                               ; 0x0
	.size	__hip_cuid_1579ae2106374029, 1

	.ident	"AMD clang version 19.0.0git (https://github.com/RadeonOpenCompute/llvm-project roc-6.4.0 25133 c7fe45cf4b819c5991fe208aaa96edf142730f1d)"
	.section	".note.GNU-stack","",@progbits
	.addrsig
	.addrsig_sym __hip_cuid_1579ae2106374029
	.amdgpu_metadata
---
amdhsa.kernels:
  - .args:
      - .actual_access:  read_only
        .address_space:  global
        .offset:         0
        .size:           8
        .value_kind:     global_buffer
      - .offset:         8
        .size:           8
        .value_kind:     by_value
      - .actual_access:  read_only
        .address_space:  global
        .offset:         16
        .size:           8
        .value_kind:     global_buffer
      - .actual_access:  read_only
        .address_space:  global
        .offset:         24
        .size:           8
        .value_kind:     global_buffer
      - .actual_access:  read_only
        .address_space:  global
        .offset:         32
        .size:           8
        .value_kind:     global_buffer
      - .offset:         40
        .size:           8
        .value_kind:     by_value
      - .actual_access:  read_only
        .address_space:  global
        .offset:         48
        .size:           8
        .value_kind:     global_buffer
      - .actual_access:  read_only
        .address_space:  global
        .offset:         56
        .size:           8
        .value_kind:     global_buffer
      - .offset:         64
        .size:           4
        .value_kind:     by_value
      - .actual_access:  read_only
        .address_space:  global
        .offset:         72
        .size:           8
        .value_kind:     global_buffer
      - .actual_access:  read_only
        .address_space:  global
        .offset:         80
        .size:           8
        .value_kind:     global_buffer
      - .actual_access:  read_only
        .address_space:  global
        .offset:         88
        .size:           8
        .value_kind:     global_buffer
      - .actual_access:  write_only
        .address_space:  global
        .offset:         96
        .size:           8
        .value_kind:     global_buffer
    .group_segment_fixed_size: 0
    .kernarg_segment_align: 8
    .kernarg_segment_size: 104
    .language:       OpenCL C
    .language_version:
      - 2
      - 0
    .max_flat_workgroup_size: 119
    .name:           fft_rtc_fwd_len272_factors_16_17_wgs_119_tpt_17_halfLds_half_op_CI_CI_unitstride_sbrr_dirReg
    .private_segment_fixed_size: 0
    .sgpr_count:     29
    .sgpr_spill_count: 0
    .symbol:         fft_rtc_fwd_len272_factors_16_17_wgs_119_tpt_17_halfLds_half_op_CI_CI_unitstride_sbrr_dirReg.kd
    .uniform_work_group_size: 1
    .uses_dynamic_stack: false
    .vgpr_count:     254
    .vgpr_spill_count: 0
    .wavefront_size: 32
    .workgroup_processor_mode: 1
amdhsa.target:   amdgcn-amd-amdhsa--gfx1030
amdhsa.version:
  - 1
  - 2
...

	.end_amdgpu_metadata
